;; amdgpu-corpus repo=ROCm/rocFFT kind=compiled arch=gfx906 opt=O3
	.text
	.amdgcn_target "amdgcn-amd-amdhsa--gfx906"
	.amdhsa_code_object_version 6
	.protected	fft_rtc_fwd_len26_factors_13_2_wgs_64_tpt_2_halfLds_dp_ip_CI_unitstride_sbrr_R2C_dirReg ; -- Begin function fft_rtc_fwd_len26_factors_13_2_wgs_64_tpt_2_halfLds_dp_ip_CI_unitstride_sbrr_R2C_dirReg
	.globl	fft_rtc_fwd_len26_factors_13_2_wgs_64_tpt_2_halfLds_dp_ip_CI_unitstride_sbrr_R2C_dirReg
	.p2align	8
	.type	fft_rtc_fwd_len26_factors_13_2_wgs_64_tpt_2_halfLds_dp_ip_CI_unitstride_sbrr_R2C_dirReg,@function
fft_rtc_fwd_len26_factors_13_2_wgs_64_tpt_2_halfLds_dp_ip_CI_unitstride_sbrr_R2C_dirReg: ; @fft_rtc_fwd_len26_factors_13_2_wgs_64_tpt_2_halfLds_dp_ip_CI_unitstride_sbrr_R2C_dirReg
; %bb.0:
	s_load_dwordx2 s[12:13], s[4:5], 0x50
	s_load_dwordx4 s[8:11], s[4:5], 0x0
	s_load_dwordx2 s[2:3], s[4:5], 0x18
	v_lshrrev_b32_e32 v9, 1, v0
	v_mov_b32_e32 v3, 0
	v_mov_b32_e32 v1, 0
	s_waitcnt lgkmcnt(0)
	v_cmp_lt_u64_e64 s[0:1], s[10:11], 2
	v_lshl_or_b32 v5, s6, 5, v9
	v_mov_b32_e32 v6, v3
	s_and_b64 vcc, exec, s[0:1]
	v_mov_b32_e32 v2, 0
	s_cbranch_vccnz .LBB0_8
; %bb.1:
	s_load_dwordx2 s[0:1], s[4:5], 0x10
	s_add_u32 s6, s2, 8
	s_addc_u32 s7, s3, 0
	v_mov_b32_e32 v1, 0
	v_mov_b32_e32 v2, 0
	s_waitcnt lgkmcnt(0)
	s_add_u32 s14, s0, 8
	s_addc_u32 s15, s1, 0
	s_mov_b64 s[16:17], 1
.LBB0_2:                                ; =>This Inner Loop Header: Depth=1
	s_load_dwordx2 s[18:19], s[14:15], 0x0
                                        ; implicit-def: $vgpr7_vgpr8
	s_waitcnt lgkmcnt(0)
	v_or_b32_e32 v4, s19, v6
	v_cmp_ne_u64_e32 vcc, 0, v[3:4]
	s_and_saveexec_b64 s[0:1], vcc
	s_xor_b64 s[20:21], exec, s[0:1]
	s_cbranch_execz .LBB0_4
; %bb.3:                                ;   in Loop: Header=BB0_2 Depth=1
	v_cvt_f32_u32_e32 v4, s18
	v_cvt_f32_u32_e32 v7, s19
	s_sub_u32 s0, 0, s18
	s_subb_u32 s1, 0, s19
	v_mac_f32_e32 v4, 0x4f800000, v7
	v_rcp_f32_e32 v4, v4
	v_mul_f32_e32 v4, 0x5f7ffffc, v4
	v_mul_f32_e32 v7, 0x2f800000, v4
	v_trunc_f32_e32 v7, v7
	v_mac_f32_e32 v4, 0xcf800000, v7
	v_cvt_u32_f32_e32 v7, v7
	v_cvt_u32_f32_e32 v4, v4
	v_mul_lo_u32 v8, s0, v7
	v_mul_hi_u32 v10, s0, v4
	v_mul_lo_u32 v12, s1, v4
	v_mul_lo_u32 v11, s0, v4
	v_add_u32_e32 v8, v10, v8
	v_add_u32_e32 v8, v8, v12
	v_mul_hi_u32 v10, v4, v11
	v_mul_lo_u32 v12, v4, v8
	v_mul_hi_u32 v14, v4, v8
	v_mul_hi_u32 v13, v7, v11
	v_mul_lo_u32 v11, v7, v11
	v_mul_hi_u32 v15, v7, v8
	v_add_co_u32_e32 v10, vcc, v10, v12
	v_addc_co_u32_e32 v12, vcc, 0, v14, vcc
	v_mul_lo_u32 v8, v7, v8
	v_add_co_u32_e32 v10, vcc, v10, v11
	v_addc_co_u32_e32 v10, vcc, v12, v13, vcc
	v_addc_co_u32_e32 v11, vcc, 0, v15, vcc
	v_add_co_u32_e32 v8, vcc, v10, v8
	v_addc_co_u32_e32 v10, vcc, 0, v11, vcc
	v_add_co_u32_e32 v4, vcc, v4, v8
	v_addc_co_u32_e32 v7, vcc, v7, v10, vcc
	v_mul_lo_u32 v8, s0, v7
	v_mul_hi_u32 v10, s0, v4
	v_mul_lo_u32 v11, s1, v4
	v_mul_lo_u32 v12, s0, v4
	v_add_u32_e32 v8, v10, v8
	v_add_u32_e32 v8, v8, v11
	v_mul_lo_u32 v13, v4, v8
	v_mul_hi_u32 v14, v4, v12
	v_mul_hi_u32 v15, v4, v8
	;; [unrolled: 1-line block ×3, first 2 shown]
	v_mul_lo_u32 v12, v7, v12
	v_mul_hi_u32 v10, v7, v8
	v_add_co_u32_e32 v13, vcc, v14, v13
	v_addc_co_u32_e32 v14, vcc, 0, v15, vcc
	v_mul_lo_u32 v8, v7, v8
	v_add_co_u32_e32 v12, vcc, v13, v12
	v_addc_co_u32_e32 v11, vcc, v14, v11, vcc
	v_addc_co_u32_e32 v10, vcc, 0, v10, vcc
	v_add_co_u32_e32 v8, vcc, v11, v8
	v_addc_co_u32_e32 v10, vcc, 0, v10, vcc
	v_add_co_u32_e32 v4, vcc, v4, v8
	v_addc_co_u32_e32 v10, vcc, v7, v10, vcc
	v_mad_u64_u32 v[7:8], s[0:1], v5, v10, 0
	v_mul_hi_u32 v11, v5, v4
	v_add_co_u32_e32 v12, vcc, v11, v7
	v_addc_co_u32_e32 v13, vcc, 0, v8, vcc
	v_mad_u64_u32 v[7:8], s[0:1], v6, v4, 0
	v_mad_u64_u32 v[10:11], s[0:1], v6, v10, 0
	v_add_co_u32_e32 v4, vcc, v12, v7
	v_addc_co_u32_e32 v4, vcc, v13, v8, vcc
	v_addc_co_u32_e32 v7, vcc, 0, v11, vcc
	v_add_co_u32_e32 v4, vcc, v4, v10
	v_addc_co_u32_e32 v10, vcc, 0, v7, vcc
	v_mul_lo_u32 v11, s19, v4
	v_mul_lo_u32 v12, s18, v10
	v_mad_u64_u32 v[7:8], s[0:1], s18, v4, 0
	v_add3_u32 v8, v8, v12, v11
	v_sub_u32_e32 v11, v6, v8
	v_mov_b32_e32 v12, s19
	v_sub_co_u32_e32 v7, vcc, v5, v7
	v_subb_co_u32_e64 v11, s[0:1], v11, v12, vcc
	v_subrev_co_u32_e64 v12, s[0:1], s18, v7
	v_subbrev_co_u32_e64 v11, s[0:1], 0, v11, s[0:1]
	v_cmp_le_u32_e64 s[0:1], s19, v11
	v_cndmask_b32_e64 v13, 0, -1, s[0:1]
	v_cmp_le_u32_e64 s[0:1], s18, v12
	v_cndmask_b32_e64 v12, 0, -1, s[0:1]
	v_cmp_eq_u32_e64 s[0:1], s19, v11
	v_cndmask_b32_e64 v11, v13, v12, s[0:1]
	v_add_co_u32_e64 v12, s[0:1], 2, v4
	v_addc_co_u32_e64 v13, s[0:1], 0, v10, s[0:1]
	v_add_co_u32_e64 v14, s[0:1], 1, v4
	v_addc_co_u32_e64 v15, s[0:1], 0, v10, s[0:1]
	v_subb_co_u32_e32 v8, vcc, v6, v8, vcc
	v_cmp_ne_u32_e64 s[0:1], 0, v11
	v_cmp_le_u32_e32 vcc, s19, v8
	v_cndmask_b32_e64 v11, v15, v13, s[0:1]
	v_cndmask_b32_e64 v13, 0, -1, vcc
	v_cmp_le_u32_e32 vcc, s18, v7
	v_cndmask_b32_e64 v7, 0, -1, vcc
	v_cmp_eq_u32_e32 vcc, s19, v8
	v_cndmask_b32_e32 v7, v13, v7, vcc
	v_cmp_ne_u32_e32 vcc, 0, v7
	v_cndmask_b32_e64 v7, v14, v12, s[0:1]
	v_cndmask_b32_e32 v8, v10, v11, vcc
	v_cndmask_b32_e32 v7, v4, v7, vcc
.LBB0_4:                                ;   in Loop: Header=BB0_2 Depth=1
	s_andn2_saveexec_b64 s[0:1], s[20:21]
	s_cbranch_execz .LBB0_6
; %bb.5:                                ;   in Loop: Header=BB0_2 Depth=1
	v_cvt_f32_u32_e32 v4, s18
	s_sub_i32 s20, 0, s18
	v_rcp_iflag_f32_e32 v4, v4
	v_mul_f32_e32 v4, 0x4f7ffffe, v4
	v_cvt_u32_f32_e32 v4, v4
	v_mul_lo_u32 v7, s20, v4
	v_mul_hi_u32 v7, v4, v7
	v_add_u32_e32 v4, v4, v7
	v_mul_hi_u32 v4, v5, v4
	v_mul_lo_u32 v7, v4, s18
	v_add_u32_e32 v8, 1, v4
	v_sub_u32_e32 v7, v5, v7
	v_subrev_u32_e32 v10, s18, v7
	v_cmp_le_u32_e32 vcc, s18, v7
	v_cndmask_b32_e32 v7, v7, v10, vcc
	v_cndmask_b32_e32 v4, v4, v8, vcc
	v_add_u32_e32 v8, 1, v4
	v_cmp_le_u32_e32 vcc, s18, v7
	v_cndmask_b32_e32 v7, v4, v8, vcc
	v_mov_b32_e32 v8, v3
.LBB0_6:                                ;   in Loop: Header=BB0_2 Depth=1
	s_or_b64 exec, exec, s[0:1]
	v_mul_lo_u32 v4, v8, s18
	v_mul_lo_u32 v12, v7, s19
	v_mad_u64_u32 v[10:11], s[0:1], v7, s18, 0
	s_load_dwordx2 s[0:1], s[6:7], 0x0
	s_add_u32 s16, s16, 1
	v_add3_u32 v4, v11, v12, v4
	v_sub_co_u32_e32 v5, vcc, v5, v10
	v_subb_co_u32_e32 v4, vcc, v6, v4, vcc
	s_waitcnt lgkmcnt(0)
	v_mul_lo_u32 v4, s0, v4
	v_mul_lo_u32 v6, s1, v5
	v_mad_u64_u32 v[1:2], s[0:1], s0, v5, v[1:2]
	s_addc_u32 s17, s17, 0
	s_add_u32 s6, s6, 8
	v_add3_u32 v2, v6, v2, v4
	v_mov_b32_e32 v4, s10
	v_mov_b32_e32 v5, s11
	s_addc_u32 s7, s7, 0
	v_cmp_ge_u64_e32 vcc, s[16:17], v[4:5]
	s_add_u32 s14, s14, 8
	s_addc_u32 s15, s15, 0
	s_cbranch_vccnz .LBB0_9
; %bb.7:                                ;   in Loop: Header=BB0_2 Depth=1
	v_mov_b32_e32 v5, v7
	v_mov_b32_e32 v6, v8
	s_branch .LBB0_2
.LBB0_8:
	v_mov_b32_e32 v8, v6
	v_mov_b32_e32 v7, v5
.LBB0_9:
	s_lshl_b64 s[0:1], s[10:11], 3
	s_add_u32 s0, s2, s0
	s_addc_u32 s1, s3, s1
	s_load_dwordx2 s[2:3], s[0:1], 0x0
	s_load_dwordx2 s[6:7], s[4:5], 0x20
	v_and_b32_e32 v59, 1, v0
	v_or_b32_e32 v58, 2, v59
	v_or_b32_e32 v63, 4, v59
	s_waitcnt lgkmcnt(0)
	v_mul_lo_u32 v3, s2, v8
	v_mul_lo_u32 v4, s3, v7
	v_mad_u64_u32 v[1:2], s[0:1], s2, v7, v[1:2]
	v_cmp_gt_u64_e32 vcc, s[6:7], v[7:8]
	v_cmp_le_u64_e64 s[0:1], s[6:7], v[7:8]
	v_add3_u32 v2, v4, v2, v3
	v_or_b32_e32 v62, 6, v59
	v_or_b32_e32 v61, 8, v59
	;; [unrolled: 1-line block ×3, first 2 shown]
	s_and_saveexec_b64 s[2:3], s[0:1]
	s_xor_b64 s[0:1], exec, s[2:3]
; %bb.10:
	v_or_b32_e32 v58, 2, v59
	v_or_b32_e32 v63, 4, v59
	;; [unrolled: 1-line block ×5, first 2 shown]
; %bb.11:
	s_or_saveexec_b64 s[2:3], s[0:1]
	v_mul_u32_u24_e32 v0, 27, v9
	v_lshlrev_b64 v[56:57], 4, v[1:2]
	v_lshlrev_b32_e32 v72, 4, v59
	v_lshlrev_b32_e32 v0, 4, v0
	s_xor_b64 exec, exec, s[2:3]
	s_cbranch_execz .LBB0_13
; %bb.12:
	v_mov_b32_e32 v1, s13
	v_add_co_u32_e64 v2, s[0:1], s12, v56
	v_addc_co_u32_e64 v1, s[0:1], v1, v57, s[0:1]
	v_add_co_u32_e64 v53, s[0:1], v2, v72
	v_addc_co_u32_e64 v54, s[0:1], 0, v1, s[0:1]
	global_load_dwordx4 v[1:4], v[53:54], off
	global_load_dwordx4 v[5:8], v[53:54], off offset:32
	global_load_dwordx4 v[9:12], v[53:54], off offset:64
	;; [unrolled: 1-line block ×12, first 2 shown]
	v_add3_u32 v53, 0, v0, v72
	s_waitcnt vmcnt(12)
	ds_write_b128 v53, v[1:4]
	s_waitcnt vmcnt(11)
	ds_write_b128 v53, v[5:8] offset:32
	s_waitcnt vmcnt(10)
	ds_write_b128 v53, v[9:12] offset:64
	;; [unrolled: 2-line block ×12, first 2 shown]
.LBB0_13:
	s_or_b64 exec, exec, s[2:3]
	v_add_u32_e32 v74, 0, v0
	v_add3_u32 v75, 0, v72, v0
	s_waitcnt lgkmcnt(0)
	; wave barrier
	s_waitcnt lgkmcnt(0)
	v_add_u32_e32 v73, v74, v72
	ds_read_b128 v[4:7], v75 offset:32
	ds_read_b128 v[0:3], v73
	ds_read_b128 v[8:11], v75 offset:64
	ds_read_b128 v[40:43], v75 offset:96
	;; [unrolled: 1-line block ×4, first 2 shown]
	s_waitcnt lgkmcnt(4)
	v_add_f64 v[14:15], v[2:3], v[6:7]
	v_add_f64 v[12:13], v[0:1], v[4:5]
	ds_read_b128 v[16:19], v75 offset:192
	ds_read_b128 v[28:31], v75 offset:224
	ds_read_b128 v[36:39], v75 offset:256
	ds_read_b128 v[48:51], v75 offset:288
	ds_read_b128 v[52:55], v75 offset:320
	ds_read_b128 v[64:67], v75 offset:352
	ds_read_b128 v[68:71], v75 offset:384
	s_mov_b32 s15, 0xbfddbe06
	s_mov_b32 s14, 0x4267c47c
	s_waitcnt lgkmcnt(5)
	v_add_f64 v[22:23], v[18:19], -v[30:31]
	v_add_f64 v[14:15], v[14:15], v[10:11]
	v_add_f64 v[12:13], v[12:13], v[8:9]
	s_mov_b32 s6, 0xe00740e9
	s_mov_b32 s20, 0x42a4c3d2
	s_mov_b32 s24, 0x66966769
	s_mov_b32 s10, 0x2ef20147
	s_mov_b32 s16, 0x24c2f84
	s_mov_b32 s26, 0x4bc48dbf
	v_add_f64 v[14:15], v[14:15], v[42:43]
	v_add_f64 v[12:13], v[12:13], v[40:41]
	s_mov_b32 s7, 0x3fec55a7
	s_mov_b32 s21, 0xbfea55e2
	s_mov_b32 s25, 0xbfefc445
	s_mov_b32 s11, 0xbfedeba7
	s_mov_b32 s17, 0xbfe5384d
	s_mov_b32 s27, 0xbfcea1e5
	v_add_f64 v[14:15], v[14:15], v[34:35]
	v_add_f64 v[12:13], v[12:13], v[32:33]
	s_mov_b32 s2, 0x1ea71119
	s_mov_b32 s0, 0xebaa3ed8
	s_mov_b32 s4, 0xb2365da1
	s_mov_b32 s18, 0xd0032e0c
	s_mov_b32 s22, 0x93053d00
	s_mov_b32 s3, 0x3fe22d96
	v_add_f64 v[14:15], v[14:15], v[26:27]
	v_add_f64 v[12:13], v[12:13], v[24:25]
	s_mov_b32 s1, 0x3fbedb7d
	s_mov_b32 s5, 0xbfd6b1d8
	s_mov_b32 s19, 0xbfe7f3cc
	s_mov_b32 s23, 0xbfef11f4
	s_mov_b32 s31, 0x3fe5384d
	s_mov_b32 s30, s16
	v_add_f64 v[44:45], v[14:15], v[18:19]
	v_add_f64 v[20:21], v[12:13], v[16:17]
	v_add_f64 v[12:13], v[18:19], v[30:31]
	v_add_f64 v[14:15], v[16:17], v[28:29]
	v_add_f64 v[16:17], v[16:17], -v[28:29]
	s_waitcnt lgkmcnt(4)
	v_add_f64 v[18:19], v[24:25], v[36:37]
	s_mov_b32 s29, 0x3fefc445
	s_mov_b32 s28, s24
	v_add_f64 v[44:45], v[44:45], v[30:31]
	v_add_f64 v[46:47], v[20:21], v[28:29]
	;; [unrolled: 1-line block ×3, first 2 shown]
	v_add_f64 v[30:31], v[26:27], -v[38:39]
	s_waitcnt lgkmcnt(3)
	v_add_f64 v[26:27], v[34:35], v[50:51]
	v_add_f64 v[28:29], v[24:25], -v[36:37]
	v_add_f64 v[24:25], v[32:33], v[48:49]
	s_mov_b32 s35, 0x3fedeba7
	v_add_f64 v[78:79], v[44:45], v[38:39]
	v_add_f64 v[76:77], v[46:47], v[36:37]
	v_add_f64 v[38:39], v[34:35], -v[50:51]
	v_add_f64 v[36:37], v[32:33], -v[48:49]
	s_waitcnt lgkmcnt(2)
	v_add_f64 v[32:33], v[40:41], v[52:53]
	v_add_f64 v[44:45], v[40:41], -v[52:53]
	v_add_f64 v[34:35], v[42:43], v[54:55]
	v_add_f64 v[46:47], v[42:43], -v[54:55]
	v_add_f64 v[50:51], v[78:79], v[50:51]
	v_add_f64 v[48:49], v[76:77], v[48:49]
	s_waitcnt lgkmcnt(0)
	v_add_f64 v[76:77], v[6:7], -v[70:71]
	v_add_f64 v[78:79], v[4:5], v[68:69]
	v_add_f64 v[40:41], v[8:9], v[64:65]
	;; [unrolled: 1-line block ×3, first 2 shown]
	v_add_f64 v[8:9], v[8:9], -v[64:65]
	v_add_f64 v[10:11], v[10:11], -v[66:67]
	v_add_f64 v[50:51], v[50:51], v[54:55]
	v_add_f64 v[48:49], v[48:49], v[52:53]
	;; [unrolled: 1-line block ×3, first 2 shown]
	v_mul_f64 v[6:7], v[76:77], s[14:15]
	v_add_f64 v[54:55], v[4:5], -v[68:69]
	v_mul_f64 v[4:5], v[76:77], s[20:21]
	v_mul_f64 v[80:81], v[76:77], s[24:25]
	v_mul_f64 v[82:83], v[76:77], s[10:11]
	v_add_f64 v[50:51], v[50:51], v[66:67]
	v_add_f64 v[48:49], v[48:49], v[64:65]
	v_mul_f64 v[64:65], v[76:77], s[16:17]
	v_fma_f64 v[66:67], v[78:79], s[6:7], -v[6:7]
	v_fma_f64 v[84:85], v[78:79], s[6:7], v[6:7]
	v_fma_f64 v[86:87], v[78:79], s[2:3], -v[4:5]
	v_fma_f64 v[88:89], v[78:79], s[2:3], v[4:5]
	v_fma_f64 v[90:91], v[78:79], s[0:1], -v[80:81]
	v_add_f64 v[6:7], v[50:51], v[70:71]
	v_mul_f64 v[50:51], v[76:77], s[26:27]
	v_add_f64 v[4:5], v[48:49], v[68:69]
	v_fma_f64 v[48:49], v[78:79], s[0:1], v[80:81]
	v_fma_f64 v[68:69], v[78:79], s[4:5], -v[82:83]
	v_fma_f64 v[70:71], v[78:79], s[4:5], v[82:83]
	v_fma_f64 v[76:77], v[78:79], s[18:19], -v[64:65]
	v_mul_f64 v[80:81], v[54:55], s[14:15]
	v_fma_f64 v[64:65], v[78:79], s[18:19], v[64:65]
	v_fma_f64 v[82:83], v[78:79], s[22:23], -v[50:51]
	v_mul_f64 v[92:93], v[54:55], s[20:21]
	v_fma_f64 v[50:51], v[78:79], s[22:23], v[50:51]
	v_mul_f64 v[78:79], v[54:55], s[24:25]
	v_mul_f64 v[96:97], v[54:55], s[10:11]
	;; [unrolled: 1-line block ×3, first 2 shown]
	v_fma_f64 v[94:95], v[52:53], s[6:7], v[80:81]
	v_mul_f64 v[54:55], v[54:55], s[26:27]
	v_fma_f64 v[80:81], v[52:53], s[6:7], -v[80:81]
	v_fma_f64 v[100:101], v[52:53], s[2:3], v[92:93]
	v_fma_f64 v[92:93], v[52:53], s[2:3], -v[92:93]
	v_fma_f64 v[102:103], v[52:53], s[0:1], v[78:79]
	;; [unrolled: 2-line block ×5, first 2 shown]
	v_fma_f64 v[52:53], v[52:53], s[22:23], -v[54:55]
	v_add_f64 v[54:55], v[0:1], v[66:67]
	v_add_f64 v[66:67], v[2:3], v[94:95]
	;; [unrolled: 1-line block ×5, first 2 shown]
	v_mul_f64 v[48:49], v[10:11], s[20:21]
	v_add_f64 v[110:111], v[0:1], v[68:69]
	v_add_f64 v[112:113], v[0:1], v[70:71]
	;; [unrolled: 1-line block ×3, first 2 shown]
	v_mul_f64 v[68:69], v[8:9], s[20:21]
	v_mul_f64 v[70:71], v[46:47], s[24:25]
	v_add_f64 v[84:85], v[0:1], v[84:85]
	v_add_f64 v[80:81], v[2:3], v[80:81]
	v_fma_f64 v[64:65], v[40:41], s[2:3], -v[48:49]
	v_add_f64 v[86:87], v[0:1], v[86:87]
	v_add_f64 v[88:89], v[0:1], v[88:89]
	;; [unrolled: 1-line block ×15, first 2 shown]
	v_fma_f64 v[2:3], v[42:43], s[2:3], v[68:69]
	v_fma_f64 v[50:51], v[32:33], s[0:1], -v[70:71]
	v_mul_f64 v[52:53], v[44:45], s[24:25]
	v_mul_f64 v[54:55], v[38:39], s[10:11]
	;; [unrolled: 1-line block ×3, first 2 shown]
	v_fma_f64 v[48:49], v[40:41], s[2:3], v[48:49]
	v_fma_f64 v[70:71], v[32:33], s[0:1], v[70:71]
	v_mul_f64 v[82:83], v[44:45], s[26:27]
	v_add_f64 v[2:3], v[2:3], v[66:67]
	v_add_f64 v[0:1], v[50:51], v[0:1]
	v_fma_f64 v[50:51], v[34:35], s[0:1], v[52:53]
	v_fma_f64 v[64:65], v[24:25], s[4:5], -v[54:55]
	v_mul_f64 v[66:67], v[36:37], s[10:11]
	v_add_f64 v[48:49], v[48:49], v[84:85]
	v_fma_f64 v[52:53], v[34:35], s[0:1], -v[52:53]
	v_fma_f64 v[54:55], v[24:25], s[4:5], v[54:55]
	v_mul_f64 v[84:85], v[38:39], s[30:31]
	s_mov_b32 s15, 0x3fddbe06
	v_add_f64 v[2:3], v[50:51], v[2:3]
	v_add_f64 v[0:1], v[64:65], v[0:1]
	v_fma_f64 v[50:51], v[26:27], s[4:5], v[66:67]
	v_mul_f64 v[64:65], v[30:31], s[16:17]
	v_add_f64 v[70:71], v[70:71], v[48:49]
	v_fma_f64 v[66:67], v[26:27], s[4:5], -v[66:67]
	s_mov_b32 s34, s10
	s_waitcnt lgkmcnt(0)
	; wave barrier
	v_add_f64 v[2:3], v[50:51], v[2:3]
	v_fma_f64 v[50:51], v[18:19], s[18:19], -v[64:65]
	v_add_f64 v[0:1], v[50:51], v[0:1]
	v_fma_f64 v[50:51], v[20:21], s[18:19], v[76:77]
	v_add_f64 v[2:3], v[50:51], v[2:3]
	v_fma_f64 v[50:51], v[42:43], s[2:3], -v[68:69]
	v_mul_f64 v[68:69], v[22:23], s[26:27]
	v_add_f64 v[50:51], v[50:51], v[80:81]
	v_mul_f64 v[80:81], v[16:17], s[26:27]
	v_fma_f64 v[48:49], v[14:15], s[22:23], -v[68:69]
	v_fma_f64 v[68:69], v[14:15], s[22:23], v[68:69]
	v_add_f64 v[52:53], v[52:53], v[50:51]
	v_fma_f64 v[50:51], v[12:13], s[22:23], v[80:81]
	v_add_f64 v[48:49], v[48:49], v[0:1]
	v_mul_f64 v[0:1], v[10:11], s[10:11]
	v_fma_f64 v[80:81], v[12:13], s[22:23], -v[80:81]
	v_add_f64 v[52:53], v[66:67], v[52:53]
	v_add_f64 v[50:51], v[50:51], v[2:3]
	v_add_f64 v[2:3], v[54:55], v[70:71]
	v_fma_f64 v[54:55], v[18:19], s[18:19], v[64:65]
	v_fma_f64 v[64:65], v[20:21], s[18:19], -v[76:77]
	v_fma_f64 v[66:67], v[40:41], s[4:5], -v[0:1]
	v_mul_f64 v[70:71], v[8:9], s[10:11]
	v_mul_f64 v[76:77], v[46:47], s[26:27]
	v_fma_f64 v[0:1], v[40:41], s[4:5], v[0:1]
	v_add_f64 v[2:3], v[54:55], v[2:3]
	v_add_f64 v[52:53], v[64:65], v[52:53]
	;; [unrolled: 1-line block ×3, first 2 shown]
	v_fma_f64 v[64:65], v[42:43], s[4:5], v[70:71]
	v_fma_f64 v[66:67], v[32:33], s[22:23], -v[76:77]
	v_fma_f64 v[70:71], v[42:43], s[4:5], -v[70:71]
	v_add_f64 v[0:1], v[0:1], v[88:89]
	v_mul_f64 v[86:87], v[36:37], s[30:31]
	v_fma_f64 v[76:77], v[32:33], s[22:23], v[76:77]
	v_add_f64 v[64:65], v[64:65], v[94:95]
	v_add_f64 v[54:55], v[66:67], v[54:55]
	v_fma_f64 v[66:67], v[34:35], s[22:23], v[82:83]
	v_add_f64 v[70:71], v[70:71], v[92:93]
	v_fma_f64 v[82:83], v[34:35], s[22:23], -v[82:83]
	v_fma_f64 v[88:89], v[26:27], s[18:19], v[86:87]
	v_add_f64 v[76:77], v[76:77], v[0:1]
	v_mul_f64 v[92:93], v[30:31], s[28:29]
	v_add_f64 v[0:1], v[68:69], v[2:3]
	v_fma_f64 v[2:3], v[26:27], s[18:19], -v[86:87]
	v_add_f64 v[64:65], v[66:67], v[64:65]
	v_fma_f64 v[66:67], v[24:25], s[18:19], -v[84:85]
	v_add_f64 v[70:71], v[82:83], v[70:71]
	v_mul_f64 v[82:83], v[28:29], s[28:29]
	v_fma_f64 v[84:85], v[24:25], s[18:19], v[84:85]
	v_mul_f64 v[86:87], v[16:17], s[14:15]
	v_add_f64 v[64:65], v[88:89], v[64:65]
	v_add_f64 v[54:55], v[66:67], v[54:55]
	v_fma_f64 v[66:67], v[18:19], s[0:1], -v[92:93]
	v_fma_f64 v[68:69], v[20:21], s[0:1], v[82:83]
	v_add_f64 v[76:77], v[84:85], v[76:77]
	v_mul_f64 v[84:85], v[22:23], s[14:15]
	v_add_f64 v[70:71], v[2:3], v[70:71]
	v_fma_f64 v[88:89], v[18:19], s[0:1], v[92:93]
	v_fma_f64 v[82:83], v[20:21], s[0:1], -v[82:83]
	v_add_f64 v[2:3], v[80:81], v[52:53]
	v_mul_f64 v[80:81], v[10:11], s[26:27]
	v_add_f64 v[52:53], v[66:67], v[54:55]
	v_add_f64 v[54:55], v[68:69], v[64:65]
	v_fma_f64 v[64:65], v[14:15], s[6:7], -v[84:85]
	v_fma_f64 v[66:67], v[12:13], s[6:7], v[86:87]
	v_add_f64 v[68:69], v[88:89], v[76:77]
	v_add_f64 v[70:71], v[82:83], v[70:71]
	v_fma_f64 v[76:77], v[14:15], s[6:7], v[84:85]
	v_fma_f64 v[82:83], v[12:13], s[6:7], -v[86:87]
	v_fma_f64 v[84:85], v[40:41], s[22:23], -v[80:81]
	v_mul_f64 v[86:87], v[8:9], s[26:27]
	v_mul_f64 v[88:89], v[46:47], s[34:35]
	v_add_f64 v[52:53], v[64:65], v[52:53]
	v_add_f64 v[54:55], v[66:67], v[54:55]
	v_mul_f64 v[92:93], v[36:37], s[14:15]
	v_add_f64 v[64:65], v[76:77], v[68:69]
	v_add_f64 v[66:67], v[82:83], v[70:71]
	;; [unrolled: 1-line block ×3, first 2 shown]
	v_fma_f64 v[70:71], v[42:43], s[22:23], v[86:87]
	v_fma_f64 v[76:77], v[32:33], s[4:5], -v[88:89]
	v_mul_f64 v[82:83], v[44:45], s[34:35]
	v_mul_f64 v[84:85], v[38:39], s[14:15]
	v_fma_f64 v[86:87], v[42:43], s[22:23], -v[86:87]
	v_fma_f64 v[80:81], v[40:41], s[22:23], v[80:81]
	v_fma_f64 v[88:89], v[32:33], s[4:5], v[88:89]
	s_mov_b32 s27, 0x3fcea1e5
	v_add_f64 v[70:71], v[70:71], v[100:101]
	v_add_f64 v[68:69], v[76:77], v[68:69]
	v_fma_f64 v[76:77], v[34:35], s[4:5], v[82:83]
	v_fma_f64 v[90:91], v[24:25], s[6:7], -v[84:85]
	v_add_f64 v[78:79], v[86:87], v[78:79]
	v_fma_f64 v[82:83], v[34:35], s[4:5], -v[82:83]
	v_mul_f64 v[86:87], v[16:17], s[16:17]
	v_add_f64 v[80:81], v[80:81], v[102:103]
	v_fma_f64 v[84:85], v[24:25], s[6:7], v[84:85]
	v_mul_f64 v[100:101], v[44:45], s[14:15]
	v_add_f64 v[70:71], v[76:77], v[70:71]
	v_add_f64 v[68:69], v[90:91], v[68:69]
	v_fma_f64 v[76:77], v[26:27], s[6:7], v[92:93]
	v_mul_f64 v[90:91], v[30:31], s[20:21]
	v_add_f64 v[78:79], v[82:83], v[78:79]
	v_fma_f64 v[82:83], v[12:13], s[18:19], v[86:87]
	v_add_f64 v[80:81], v[88:89], v[80:81]
	v_fma_f64 v[92:93], v[26:27], s[6:7], -v[92:93]
	v_mul_f64 v[102:103], v[38:39], s[24:25]
	v_fma_f64 v[86:87], v[12:13], s[18:19], -v[86:87]
	v_add_f64 v[70:71], v[76:77], v[70:71]
	v_fma_f64 v[76:77], v[18:19], s[2:3], -v[90:91]
	v_add_f64 v[80:81], v[84:85], v[80:81]
	v_add_f64 v[78:79], v[92:93], v[78:79]
	v_fma_f64 v[84:85], v[18:19], s[2:3], v[90:91]
	v_mul_f64 v[90:91], v[8:9], s[30:31]
	v_mul_f64 v[92:93], v[46:47], s[14:15]
	v_add_f64 v[68:69], v[76:77], v[68:69]
	v_mul_f64 v[76:77], v[28:29], s[20:21]
	v_add_f64 v[80:81], v[84:85], v[80:81]
	v_fma_f64 v[84:85], v[42:43], s[18:19], v[90:91]
	v_fma_f64 v[90:91], v[42:43], s[18:19], -v[90:91]
	v_fma_f64 v[94:95], v[20:21], s[2:3], v[76:77]
	v_fma_f64 v[76:77], v[20:21], s[2:3], -v[76:77]
	v_add_f64 v[84:85], v[84:85], v[104:105]
	v_add_f64 v[90:91], v[90:91], v[96:97]
	v_fma_f64 v[96:97], v[34:35], s[6:7], -v[100:101]
	v_add_f64 v[70:71], v[94:95], v[70:71]
	v_mul_f64 v[94:95], v[22:23], s[16:17]
	v_add_f64 v[78:79], v[76:77], v[78:79]
	v_add_f64 v[90:91], v[96:97], v[90:91]
	;; [unrolled: 1-line block ×3, first 2 shown]
	v_fma_f64 v[88:89], v[14:15], s[18:19], -v[94:95]
	v_mul_f64 v[82:83], v[10:11], s[30:31]
	v_fma_f64 v[94:95], v[14:15], s[18:19], v[94:95]
	v_add_f64 v[78:79], v[86:87], v[78:79]
	v_add_f64 v[68:69], v[88:89], v[68:69]
	v_fma_f64 v[88:89], v[40:41], s[18:19], -v[82:83]
	v_fma_f64 v[82:83], v[40:41], s[18:19], v[82:83]
	v_add_f64 v[76:77], v[88:89], v[110:111]
	v_fma_f64 v[88:89], v[32:33], s[6:7], -v[92:93]
	v_add_f64 v[82:83], v[82:83], v[112:113]
	v_fma_f64 v[92:93], v[32:33], s[6:7], v[92:93]
	v_mul_f64 v[112:113], v[8:9], s[28:29]
	v_mul_f64 v[8:9], v[8:9], s[14:15]
	v_add_f64 v[76:77], v[88:89], v[76:77]
	v_fma_f64 v[88:89], v[34:35], s[6:7], v[100:101]
	v_add_f64 v[82:83], v[92:93], v[82:83]
	v_fma_f64 v[100:101], v[24:25], s[0:1], v[102:103]
	v_add_f64 v[84:85], v[88:89], v[84:85]
	v_fma_f64 v[88:89], v[24:25], s[0:1], -v[102:103]
	v_add_f64 v[100:101], v[100:101], v[82:83]
	v_add_f64 v[76:77], v[88:89], v[76:77]
	v_mul_f64 v[88:89], v[36:37], s[24:25]
	s_mov_b32 s25, 0x3fea55e2
	s_mov_b32 s24, s20
	v_mul_f64 v[92:93], v[22:23], s[24:25]
	v_mul_f64 v[96:97], v[16:17], s[24:25]
	v_fma_f64 v[104:105], v[26:27], s[0:1], v[88:89]
	v_fma_f64 v[88:89], v[26:27], s[0:1], -v[88:89]
	v_fma_f64 v[82:83], v[14:15], s[2:3], -v[92:93]
	v_add_f64 v[84:85], v[104:105], v[84:85]
	v_mul_f64 v[104:105], v[30:31], s[26:27]
	v_add_f64 v[88:89], v[88:89], v[90:91]
	v_fma_f64 v[90:91], v[12:13], s[2:3], v[96:97]
	v_fma_f64 v[110:111], v[18:19], s[22:23], -v[104:105]
	v_fma_f64 v[102:103], v[18:19], s[22:23], v[104:105]
	v_add_f64 v[110:111], v[110:111], v[76:77]
	v_mul_f64 v[76:77], v[28:29], s[26:27]
	v_fma_f64 v[124:125], v[20:21], s[22:23], v[76:77]
	v_fma_f64 v[104:105], v[20:21], s[22:23], -v[76:77]
	v_add_f64 v[76:77], v[94:95], v[80:81]
	v_mul_f64 v[94:95], v[10:11], s[28:29]
	v_add_f64 v[80:81], v[82:83], v[110:111]
	v_fma_f64 v[110:111], v[42:43], s[0:1], -v[112:113]
	v_mul_f64 v[10:11], v[10:11], s[14:15]
	v_add_f64 v[84:85], v[124:125], v[84:85]
	v_add_f64 v[86:87], v[104:105], v[88:89]
	v_fma_f64 v[88:89], v[14:15], s[2:3], v[92:93]
	v_fma_f64 v[92:93], v[40:41], s[0:1], -v[94:95]
	v_fma_f64 v[94:95], v[40:41], s[0:1], v[94:95]
	v_mul_f64 v[104:105], v[38:39], s[26:27]
	v_add_f64 v[98:99], v[110:111], v[98:99]
	v_mul_f64 v[110:111], v[28:29], s[14:15]
	v_add_f64 v[82:83], v[90:91], v[84:85]
	v_add_f64 v[84:85], v[102:103], v[100:101]
	v_fma_f64 v[90:91], v[12:13], s[2:3], -v[96:97]
	v_fma_f64 v[96:97], v[42:43], s[0:1], v[112:113]
	v_mul_f64 v[100:101], v[46:47], s[20:21]
	v_mul_f64 v[102:103], v[44:45], s[20:21]
	v_add_f64 v[94:95], v[94:95], v[116:117]
	v_mul_f64 v[112:113], v[30:31], s[14:15]
	v_mul_f64 v[46:47], v[46:47], s[16:17]
	v_add_f64 v[84:85], v[88:89], v[84:85]
	v_add_f64 v[86:87], v[90:91], v[86:87]
	;; [unrolled: 1-line block ×4, first 2 shown]
	v_fma_f64 v[92:93], v[32:33], s[2:3], -v[100:101]
	v_fma_f64 v[96:97], v[34:35], s[2:3], v[102:103]
	v_mul_f64 v[106:107], v[36:37], s[26:27]
	v_fma_f64 v[100:101], v[32:33], s[2:3], v[100:101]
	v_fma_f64 v[102:103], v[34:35], s[2:3], -v[102:103]
	v_mul_f64 v[44:45], v[44:45], s[16:17]
	v_mul_f64 v[38:39], v[38:39], s[24:25]
	;; [unrolled: 1-line block ×3, first 2 shown]
	v_add_f64 v[88:89], v[92:93], v[88:89]
	v_add_f64 v[90:91], v[96:97], v[90:91]
	v_fma_f64 v[92:93], v[24:25], s[22:23], -v[104:105]
	v_fma_f64 v[96:97], v[26:27], s[22:23], v[106:107]
	v_add_f64 v[94:95], v[100:101], v[94:95]
	v_add_f64 v[98:99], v[102:103], v[98:99]
	v_fma_f64 v[100:101], v[24:25], s[22:23], v[104:105]
	v_fma_f64 v[102:103], v[26:27], s[22:23], -v[106:107]
	v_mul_f64 v[30:31], v[30:31], s[10:11]
	v_mul_f64 v[28:29], v[28:29], s[10:11]
	v_add_f64 v[88:89], v[92:93], v[88:89]
	v_add_f64 v[90:91], v[96:97], v[90:91]
	v_fma_f64 v[92:93], v[18:19], s[6:7], -v[112:113]
	v_fma_f64 v[96:97], v[20:21], s[6:7], v[110:111]
	v_add_f64 v[94:95], v[100:101], v[94:95]
	v_add_f64 v[98:99], v[102:103], v[98:99]
	v_fma_f64 v[100:101], v[18:19], s[6:7], v[112:113]
	v_fma_f64 v[102:103], v[20:21], s[6:7], -v[110:111]
	v_fma_f64 v[110:111], v[40:41], s[6:7], -v[10:11]
	v_fma_f64 v[112:113], v[42:43], s[6:7], v[8:9]
	v_fma_f64 v[10:11], v[40:41], s[6:7], v[10:11]
	v_fma_f64 v[8:9], v[42:43], s[6:7], -v[8:9]
	v_add_f64 v[88:89], v[92:93], v[88:89]
	v_add_f64 v[90:91], v[96:97], v[90:91]
	;; [unrolled: 1-line block ×6, first 2 shown]
	v_fma_f64 v[100:101], v[32:33], s[18:19], -v[46:47]
	v_fma_f64 v[102:103], v[34:35], s[18:19], v[44:45]
	v_add_f64 v[10:11], v[10:11], v[120:121]
	v_add_f64 v[8:9], v[8:9], v[122:123]
	v_fma_f64 v[32:33], v[32:33], s[18:19], v[46:47]
	v_fma_f64 v[34:35], v[34:35], s[18:19], -v[44:45]
	v_fma_f64 v[44:45], v[24:25], s[2:3], -v[38:39]
	v_fma_f64 v[46:47], v[26:27], s[2:3], v[36:37]
	v_add_f64 v[40:41], v[100:101], v[40:41]
	v_add_f64 v[42:43], v[102:103], v[42:43]
	v_fma_f64 v[24:25], v[24:25], s[2:3], v[38:39]
	v_fma_f64 v[26:27], v[26:27], s[2:3], -v[36:37]
	v_add_f64 v[10:11], v[32:33], v[10:11]
	v_add_f64 v[8:9], v[34:35], v[8:9]
	v_mul_f64 v[92:93], v[22:23], s[10:11]
	v_mul_f64 v[96:97], v[16:17], s[10:11]
	v_add_f64 v[32:33], v[44:45], v[40:41]
	v_add_f64 v[34:35], v[46:47], v[42:43]
	v_fma_f64 v[36:37], v[18:19], s[4:5], -v[30:31]
	v_fma_f64 v[38:39], v[20:21], s[4:5], v[28:29]
	v_mul_f64 v[22:23], v[22:23], s[28:29]
	v_mul_f64 v[16:17], v[16:17], s[28:29]
	v_add_f64 v[10:11], v[24:25], v[10:11]
	v_add_f64 v[8:9], v[26:27], v[8:9]
	v_fma_f64 v[18:19], v[18:19], s[4:5], v[30:31]
	v_fma_f64 v[20:21], v[20:21], s[4:5], -v[28:29]
	v_fma_f64 v[104:105], v[14:15], s[4:5], -v[92:93]
	v_fma_f64 v[106:107], v[12:13], s[4:5], v[96:97]
	v_add_f64 v[28:29], v[36:37], v[32:33]
	v_add_f64 v[30:31], v[38:39], v[34:35]
	v_fma_f64 v[32:33], v[14:15], s[0:1], -v[22:23]
	v_fma_f64 v[34:35], v[12:13], s[0:1], v[16:17]
	v_fma_f64 v[24:25], v[14:15], s[4:5], v[92:93]
	v_fma_f64 v[26:27], v[12:13], s[4:5], -v[96:97]
	v_add_f64 v[36:37], v[18:19], v[10:11]
	v_add_f64 v[38:39], v[20:21], v[8:9]
	v_fma_f64 v[20:21], v[14:15], s[0:1], v[22:23]
	v_fma_f64 v[22:23], v[12:13], s[0:1], -v[16:17]
	v_add_f64 v[8:9], v[104:105], v[88:89]
	v_add_f64 v[10:11], v[106:107], v[90:91]
	;; [unrolled: 1-line block ×4, first 2 shown]
	s_movk_i32 s0, 0xd0
	v_add_f64 v[12:13], v[24:25], v[94:95]
	v_add_f64 v[14:15], v[26:27], v[98:99]
	;; [unrolled: 1-line block ×4, first 2 shown]
	v_mad_u32_u24 v24, v59, s0, v74
	ds_write_b128 v24, v[4:7]
	ds_write_b128 v24, v[48:51] offset:16
	ds_write_b128 v24, v[52:55] offset:32
	ds_write_b128 v24, v[68:71] offset:48
	ds_write_b128 v24, v[80:83] offset:64
	ds_write_b128 v24, v[8:11] offset:80
	ds_write_b128 v24, v[16:19] offset:96
	ds_write_b128 v24, v[20:23] offset:112
	ds_write_b128 v24, v[12:15] offset:128
	ds_write_b128 v24, v[84:87] offset:144
	ds_write_b128 v24, v[76:79] offset:160
	ds_write_b128 v24, v[64:67] offset:176
	ds_write_b128 v24, v[0:3] offset:192
	s_waitcnt lgkmcnt(0)
	; wave barrier
	s_waitcnt lgkmcnt(0)
	v_lshl_add_u32 v80, v58, 4, v74
	v_lshl_add_u32 v79, v63, 4, v74
	;; [unrolled: 1-line block ×5, first 2 shown]
	ds_read_b128 v[28:31], v73
	ds_read_b128 v[48:51], v75 offset:208
	ds_read_b128 v[40:43], v75 offset:240
	;; [unrolled: 1-line block ×3, first 2 shown]
	ds_read_b128 v[16:19], v79
	ds_read_b128 v[8:11], v78
	ds_read_b128 v[44:47], v75 offset:304
	ds_read_b128 v[36:39], v75 offset:336
	ds_read_b128 v[20:23], v77
	ds_read_b128 v[12:15], v76
	;; [unrolled: 1-line block ×3, first 2 shown]
	ds_read_b128 v[52:55], v75 offset:368
	v_cmp_ne_u32_e64 s[0:1], 0, v59
	v_mov_b32_e32 v70, 0
	v_cmp_eq_u32_e64 s[2:3], 0, v59
	v_mov_b32_e32 v71, 0
                                        ; implicit-def: $vgpr6_vgpr7
	s_and_saveexec_b64 s[4:5], s[2:3]
	s_cbranch_execz .LBB0_15
; %bb.14:
	ds_read_b128 v[0:3], v74 offset:192
	ds_read_b128 v[4:7], v74 offset:400
	v_mov_b32_e32 v70, 12
	v_mov_b32_e32 v71, 0
.LBB0_15:
	s_or_b64 exec, exec, s[4:5]
	v_mov_b32_e32 v59, 0
	v_lshlrev_b64 v[64:65], 4, v[58:59]
	v_mov_b32_e32 v71, s9
	v_add_co_u32_e64 v66, s[4:5], s8, v64
	v_mov_b32_e32 v64, v59
	v_lshlrev_b64 v[63:64], 4, v[63:64]
	v_addc_co_u32_e64 v67, s[4:5], v71, v65, s[4:5]
	v_add_co_u32_e64 v68, s[4:5], s8, v63
	v_mov_b32_e32 v63, v59
	v_lshlrev_b64 v[62:63], 4, v[62:63]
	global_load_dwordx4 v[81:84], v72, s[8:9]
	v_addc_co_u32_e64 v69, s[4:5], v71, v64, s[4:5]
	v_add_co_u32_e64 v64, s[4:5], s8, v62
	v_mov_b32_e32 v62, v59
	v_addc_co_u32_e64 v65, s[4:5], v71, v63, s[4:5]
	v_lshlrev_b64 v[62:63], 4, v[61:62]
	global_load_dwordx4 v[85:88], v[66:67], off
	global_load_dwordx4 v[89:92], v[68:69], off
	v_mov_b32_e32 v61, v59
	v_add_co_u32_e64 v62, s[4:5], s8, v62
	v_lshlrev_b64 v[58:59], 4, v[60:61]
	v_addc_co_u32_e64 v63, s[4:5], v71, v63, s[4:5]
	global_load_dwordx4 v[93:96], v[64:65], off
	global_load_dwordx4 v[97:100], v[62:63], off
	v_add_co_u32_e64 v58, s[4:5], s8, v58
	v_addc_co_u32_e64 v59, s[4:5], v71, v59, s[4:5]
	global_load_dwordx4 v[101:104], v[58:59], off
	s_waitcnt lgkmcnt(0)
	; wave barrier
	s_waitcnt vmcnt(5) lgkmcnt(0)
	v_mul_f64 v[60:61], v[50:51], v[83:84]
	v_mul_f64 v[83:84], v[48:49], v[83:84]
	s_waitcnt vmcnt(4)
	v_mul_f64 v[105:106], v[42:43], v[87:88]
	v_mul_f64 v[87:88], v[40:41], v[87:88]
	s_waitcnt vmcnt(3)
	v_mul_f64 v[107:108], v[34:35], v[91:92]
	v_mul_f64 v[91:92], v[32:33], v[91:92]
	v_fma_f64 v[48:49], v[48:49], v[81:82], -v[60:61]
	v_fma_f64 v[50:51], v[50:51], v[81:82], v[83:84]
	s_waitcnt vmcnt(2)
	v_mul_f64 v[109:110], v[46:47], v[95:96]
	v_mul_f64 v[95:96], v[44:45], v[95:96]
	s_waitcnt vmcnt(1)
	v_mul_f64 v[111:112], v[38:39], v[99:100]
	v_mul_f64 v[99:100], v[36:37], v[99:100]
	v_fma_f64 v[40:41], v[40:41], v[85:86], -v[105:106]
	v_fma_f64 v[42:43], v[42:43], v[85:86], v[87:88]
	s_waitcnt vmcnt(0)
	v_mul_f64 v[113:114], v[54:55], v[103:104]
	v_mul_f64 v[103:104], v[52:53], v[103:104]
	v_fma_f64 v[60:61], v[32:33], v[89:90], -v[107:108]
	v_fma_f64 v[81:82], v[34:35], v[89:90], v[91:92]
	v_fma_f64 v[44:45], v[44:45], v[93:94], -v[109:110]
	v_fma_f64 v[46:47], v[46:47], v[93:94], v[95:96]
	;; [unrolled: 2-line block ×4, first 2 shown]
	v_add_f64 v[32:33], v[28:29], -v[48:49]
	v_add_f64 v[34:35], v[30:31], -v[50:51]
	v_add_f64 v[36:37], v[24:25], -v[40:41]
	v_add_f64 v[38:39], v[26:27], -v[42:43]
	v_add_f64 v[40:41], v[16:17], -v[60:61]
	v_add_f64 v[42:43], v[18:19], -v[81:82]
	v_add_f64 v[44:45], v[8:9], -v[44:45]
	v_add_f64 v[46:47], v[10:11], -v[46:47]
	v_add_f64 v[48:49], v[20:21], -v[83:84]
	v_add_f64 v[50:51], v[22:23], -v[85:86]
	v_add_f64 v[52:53], v[12:13], -v[52:53]
	v_add_f64 v[54:55], v[14:15], -v[54:55]
	v_fma_f64 v[28:29], v[28:29], 2.0, -v[32:33]
	v_fma_f64 v[30:31], v[30:31], 2.0, -v[34:35]
	;; [unrolled: 1-line block ×10, first 2 shown]
	ds_write_b128 v75, v[32:35] offset:208
	v_fma_f64 v[12:13], v[12:13], 2.0, -v[52:53]
	v_fma_f64 v[14:15], v[14:15], 2.0, -v[54:55]
	ds_write_b128 v75, v[28:31]
	ds_write_b128 v80, v[36:39] offset:208
	ds_write_b128 v80, v[24:27]
	ds_write_b128 v79, v[40:43] offset:208
	ds_write_b128 v79, v[16:19]
	ds_write_b128 v78, v[8:11]
	ds_write_b128 v78, v[44:47] offset:208
	ds_write_b128 v77, v[20:23]
	ds_write_b128 v77, v[48:51] offset:208
	;; [unrolled: 2-line block ×3, first 2 shown]
	s_and_saveexec_b64 s[4:5], s[2:3]
	s_cbranch_execz .LBB0_17
; %bb.16:
	v_lshlrev_b32_e32 v8, 4, v70
	global_load_dwordx4 v[8:11], v8, s[8:9]
	s_waitcnt vmcnt(0)
	v_mul_f64 v[12:13], v[4:5], v[10:11]
	v_mul_f64 v[10:11], v[6:7], v[10:11]
	v_fma_f64 v[6:7], v[6:7], v[8:9], v[12:13]
	v_fma_f64 v[4:5], v[4:5], v[8:9], -v[10:11]
	v_add_f64 v[6:7], v[2:3], -v[6:7]
	v_add_f64 v[4:5], v[0:1], -v[4:5]
	v_fma_f64 v[2:3], v[2:3], 2.0, -v[6:7]
	v_fma_f64 v[0:1], v[0:1], 2.0, -v[4:5]
	ds_write_b128 v74, v[0:3] offset:192
	ds_write_b128 v74, v[4:7] offset:400
.LBB0_17:
	s_or_b64 exec, exec, s[4:5]
	s_waitcnt lgkmcnt(0)
	; wave barrier
	s_waitcnt lgkmcnt(0)
	ds_read_b128 v[8:11], v73
	v_sub_u32_e32 v12, v74, v72
                                        ; implicit-def: $vgpr6_vgpr7
                                        ; implicit-def: $vgpr2_vgpr3
	s_and_saveexec_b64 s[4:5], s[0:1]
	s_xor_b64 s[6:7], exec, s[4:5]
	s_cbranch_execz .LBB0_19
; %bb.18:
	v_mov_b32_e32 v1, s9
	v_add_co_u32_e64 v0, s[4:5], s8, v72
	v_addc_co_u32_e64 v1, s[4:5], 0, v1, s[4:5]
	global_load_dwordx4 v[13:16], v[0:1], off offset:208
	ds_read_b128 v[0:3], v12 offset:416
	s_waitcnt lgkmcnt(0)
	v_add_f64 v[4:5], v[8:9], -v[0:1]
	v_add_f64 v[6:7], v[10:11], v[2:3]
	v_add_f64 v[2:3], v[10:11], -v[2:3]
	v_add_f64 v[0:1], v[8:9], v[0:1]
	v_mul_f64 v[10:11], v[4:5], 0.5
	v_mul_f64 v[4:5], v[6:7], 0.5
	;; [unrolled: 1-line block ×3, first 2 shown]
	s_waitcnt vmcnt(0)
	v_mul_f64 v[6:7], v[10:11], v[15:16]
	v_fma_f64 v[8:9], v[4:5], v[15:16], v[2:3]
	v_fma_f64 v[15:16], v[4:5], v[15:16], -v[2:3]
	v_fma_f64 v[17:18], v[0:1], 0.5, v[6:7]
	v_fma_f64 v[6:7], v[0:1], 0.5, -v[6:7]
	v_fma_f64 v[2:3], -v[13:14], v[10:11], v[8:9]
                                        ; implicit-def: $vgpr8_vgpr9
	v_fma_f64 v[0:1], v[4:5], v[13:14], v[17:18]
	v_fma_f64 v[4:5], -v[4:5], v[13:14], v[6:7]
	v_fma_f64 v[6:7], -v[13:14], v[10:11], v[15:16]
.LBB0_19:
	s_andn2_saveexec_b64 s[4:5], s[6:7]
	s_cbranch_execz .LBB0_21
; %bb.20:
	s_waitcnt lgkmcnt(0)
	v_add_f64 v[0:1], v[8:9], v[10:11]
	ds_read_b64 v[6:7], v74 offset:216
	v_add_f64 v[4:5], v[8:9], -v[10:11]
	v_mov_b32_e32 v2, 0
	v_mov_b32_e32 v3, 0
	s_waitcnt lgkmcnt(0)
	v_xor_b32_e32 v7, 0x80000000, v7
	ds_write_b64 v74, v[6:7] offset:216
	v_mov_b32_e32 v7, v3
	v_mov_b32_e32 v6, v2
.LBB0_21:
	s_or_b64 exec, exec, s[4:5]
	s_waitcnt lgkmcnt(0)
	global_load_dwordx4 v[8:11], v[66:67], off offset:208
	global_load_dwordx4 v[13:16], v[68:69], off offset:208
	ds_write_b128 v73, v[0:3]
	ds_write_b128 v12, v[4:7] offset:416
	ds_read_b128 v[0:3], v80
	ds_read_b128 v[4:7], v12 offset:384
	s_waitcnt lgkmcnt(0)
	v_add_f64 v[17:18], v[0:1], -v[4:5]
	v_add_f64 v[19:20], v[2:3], v[6:7]
	v_add_f64 v[2:3], v[2:3], -v[6:7]
	v_add_f64 v[0:1], v[0:1], v[4:5]
	v_mul_f64 v[6:7], v[17:18], 0.5
	v_mul_f64 v[21:22], v[19:20], 0.5
	;; [unrolled: 1-line block ×3, first 2 shown]
	s_waitcnt vmcnt(1)
	v_mul_f64 v[4:5], v[6:7], v[10:11]
	v_fma_f64 v[17:18], v[21:22], v[10:11], v[2:3]
	v_fma_f64 v[10:11], v[21:22], v[10:11], -v[2:3]
	v_fma_f64 v[19:20], v[0:1], 0.5, v[4:5]
	v_fma_f64 v[4:5], v[0:1], 0.5, -v[4:5]
	v_fma_f64 v[2:3], -v[8:9], v[6:7], v[17:18]
	v_fma_f64 v[6:7], -v[8:9], v[6:7], v[10:11]
	v_fma_f64 v[0:1], v[21:22], v[8:9], v[19:20]
	global_load_dwordx4 v[17:20], v[64:65], off offset:208
	v_fma_f64 v[4:5], -v[21:22], v[8:9], v[4:5]
	ds_write_b128 v80, v[0:3]
	ds_write_b128 v12, v[4:7] offset:384
	ds_read_b128 v[0:3], v79
	ds_read_b128 v[4:7], v12 offset:352
	s_waitcnt lgkmcnt(0)
	v_add_f64 v[8:9], v[0:1], -v[4:5]
	v_add_f64 v[10:11], v[2:3], v[6:7]
	v_add_f64 v[2:3], v[2:3], -v[6:7]
	v_add_f64 v[0:1], v[0:1], v[4:5]
	v_mul_f64 v[8:9], v[8:9], 0.5
	v_mul_f64 v[21:22], v[10:11], 0.5
	;; [unrolled: 1-line block ×3, first 2 shown]
	s_waitcnt vmcnt(1)
	v_mul_f64 v[4:5], v[8:9], v[15:16]
	v_fma_f64 v[6:7], v[21:22], v[15:16], v[2:3]
	v_fma_f64 v[10:11], v[21:22], v[15:16], -v[2:3]
	v_fma_f64 v[15:16], v[0:1], 0.5, v[4:5]
	v_fma_f64 v[23:24], v[0:1], 0.5, -v[4:5]
	global_load_dwordx4 v[0:3], v[62:63], off offset:208
	v_fma_f64 v[6:7], -v[13:14], v[8:9], v[6:7]
	v_fma_f64 v[10:11], -v[13:14], v[8:9], v[10:11]
	v_fma_f64 v[4:5], v[21:22], v[13:14], v[15:16]
	v_fma_f64 v[8:9], -v[21:22], v[13:14], v[23:24]
	ds_write_b128 v79, v[4:7]
	ds_write_b128 v12, v[8:11] offset:352
	ds_read_b128 v[4:7], v78
	ds_read_b128 v[8:11], v12 offset:320
	s_waitcnt lgkmcnt(0)
	v_add_f64 v[13:14], v[4:5], -v[8:9]
	v_add_f64 v[15:16], v[6:7], v[10:11]
	v_add_f64 v[6:7], v[6:7], -v[10:11]
	v_add_f64 v[4:5], v[4:5], v[8:9]
	v_mul_f64 v[13:14], v[13:14], 0.5
	v_mul_f64 v[21:22], v[15:16], 0.5
	;; [unrolled: 1-line block ×3, first 2 shown]
	s_waitcnt vmcnt(1)
	v_mul_f64 v[8:9], v[13:14], v[19:20]
	v_fma_f64 v[10:11], v[21:22], v[19:20], v[6:7]
	v_fma_f64 v[15:16], v[21:22], v[19:20], -v[6:7]
	v_fma_f64 v[19:20], v[4:5], 0.5, v[8:9]
	v_fma_f64 v[23:24], v[4:5], 0.5, -v[8:9]
	global_load_dwordx4 v[4:7], v[58:59], off offset:208
	v_fma_f64 v[10:11], -v[17:18], v[13:14], v[10:11]
	v_fma_f64 v[15:16], -v[17:18], v[13:14], v[15:16]
	v_fma_f64 v[8:9], v[21:22], v[17:18], v[19:20]
	v_fma_f64 v[13:14], -v[21:22], v[17:18], v[23:24]
	ds_write_b128 v78, v[8:11]
	ds_write_b128 v12, v[13:16] offset:320
	ds_read_b128 v[8:11], v77
	ds_read_b128 v[13:16], v12 offset:288
	s_waitcnt lgkmcnt(0)
	v_add_f64 v[17:18], v[8:9], -v[13:14]
	v_add_f64 v[19:20], v[10:11], v[15:16]
	v_add_f64 v[10:11], v[10:11], -v[15:16]
	v_add_f64 v[8:9], v[8:9], v[13:14]
	v_mul_f64 v[15:16], v[17:18], 0.5
	v_mul_f64 v[17:18], v[19:20], 0.5
	;; [unrolled: 1-line block ×3, first 2 shown]
	s_waitcnt vmcnt(1)
	v_mul_f64 v[13:14], v[15:16], v[2:3]
	v_fma_f64 v[19:20], v[17:18], v[2:3], v[10:11]
	v_fma_f64 v[2:3], v[17:18], v[2:3], -v[10:11]
	v_fma_f64 v[21:22], v[8:9], 0.5, v[13:14]
	v_fma_f64 v[13:14], v[8:9], 0.5, -v[13:14]
	v_fma_f64 v[10:11], -v[0:1], v[15:16], v[19:20]
	v_fma_f64 v[2:3], -v[0:1], v[15:16], v[2:3]
	v_fma_f64 v[8:9], v[17:18], v[0:1], v[21:22]
	v_fma_f64 v[0:1], -v[17:18], v[0:1], v[13:14]
	ds_write_b128 v77, v[8:11]
	ds_write_b128 v12, v[0:3] offset:288
	ds_read_b128 v[0:3], v76
	ds_read_b128 v[8:11], v12 offset:256
	s_waitcnt lgkmcnt(0)
	v_add_f64 v[13:14], v[0:1], -v[8:9]
	v_add_f64 v[15:16], v[2:3], v[10:11]
	v_add_f64 v[2:3], v[2:3], -v[10:11]
	v_add_f64 v[0:1], v[0:1], v[8:9]
	v_mul_f64 v[10:11], v[13:14], 0.5
	v_mul_f64 v[13:14], v[15:16], 0.5
	;; [unrolled: 1-line block ×3, first 2 shown]
	s_waitcnt vmcnt(0)
	v_mul_f64 v[8:9], v[10:11], v[6:7]
	v_fma_f64 v[15:16], v[13:14], v[6:7], v[2:3]
	v_fma_f64 v[6:7], v[13:14], v[6:7], -v[2:3]
	v_fma_f64 v[17:18], v[0:1], 0.5, v[8:9]
	v_fma_f64 v[8:9], v[0:1], 0.5, -v[8:9]
	v_fma_f64 v[2:3], -v[4:5], v[10:11], v[15:16]
	v_fma_f64 v[6:7], -v[4:5], v[10:11], v[6:7]
	v_fma_f64 v[0:1], v[13:14], v[4:5], v[17:18]
	v_fma_f64 v[4:5], -v[13:14], v[4:5], v[8:9]
	ds_write_b128 v76, v[0:3]
	ds_write_b128 v12, v[4:7] offset:256
	s_and_saveexec_b64 s[4:5], s[2:3]
	s_cbranch_execz .LBB0_23
; %bb.22:
	ds_read_b128 v[0:3], v74 offset:192
	ds_read_b128 v[4:7], v74 offset:224
	s_load_dwordx4 s[8:11], s[8:9], 0x190
	s_waitcnt lgkmcnt(0)
	v_add_f64 v[8:9], v[0:1], -v[4:5]
	v_add_f64 v[10:11], v[2:3], v[6:7]
	v_add_f64 v[2:3], v[2:3], -v[6:7]
	v_add_f64 v[0:1], v[0:1], v[4:5]
	v_mul_f64 v[6:7], v[8:9], 0.5
	v_mul_f64 v[8:9], v[10:11], 0.5
	;; [unrolled: 1-line block ×3, first 2 shown]
	v_mul_f64 v[4:5], v[6:7], s[10:11]
	v_fma_f64 v[10:11], v[8:9], s[10:11], v[2:3]
	v_fma_f64 v[12:13], v[8:9], s[10:11], -v[2:3]
	v_fma_f64 v[14:15], v[0:1], 0.5, v[4:5]
	v_fma_f64 v[4:5], v[0:1], 0.5, -v[4:5]
	v_fma_f64 v[2:3], -s[8:9], v[6:7], v[10:11]
	v_fma_f64 v[6:7], -s[8:9], v[6:7], v[12:13]
	v_fma_f64 v[0:1], v[8:9], s[8:9], v[14:15]
	v_fma_f64 v[4:5], -v[8:9], s[8:9], v[4:5]
	ds_write_b128 v74, v[0:3] offset:192
	ds_write_b128 v74, v[4:7] offset:224
.LBB0_23:
	s_or_b64 exec, exec, s[4:5]
	s_waitcnt lgkmcnt(0)
	; wave barrier
	s_waitcnt lgkmcnt(0)
	s_and_saveexec_b64 s[2:3], vcc
	s_cbranch_execz .LBB0_26
; %bb.24:
	ds_read_b128 v[2:5], v73
	ds_read_b128 v[6:9], v73 offset:32
	ds_read_b128 v[10:13], v73 offset:64
	v_mov_b32_e32 v1, s13
	v_add_co_u32_e32 v0, vcc, s12, v56
	v_addc_co_u32_e32 v1, vcc, v1, v57, vcc
	v_add_co_u32_e32 v22, vcc, v0, v72
	v_addc_co_u32_e32 v23, vcc, 0, v1, vcc
	s_waitcnt lgkmcnt(2)
	global_store_dwordx4 v[22:23], v[2:5], off
	s_waitcnt lgkmcnt(1)
	global_store_dwordx4 v[22:23], v[6:9], off offset:32
	s_waitcnt lgkmcnt(0)
	global_store_dwordx4 v[22:23], v[10:13], off offset:64
	ds_read_b128 v[2:5], v73 offset:96
	ds_read_b128 v[6:9], v73 offset:128
	;; [unrolled: 1-line block ×5, first 2 shown]
	s_waitcnt lgkmcnt(4)
	global_store_dwordx4 v[22:23], v[2:5], off offset:96
	s_waitcnt lgkmcnt(3)
	global_store_dwordx4 v[22:23], v[6:9], off offset:128
	;; [unrolled: 2-line block ×5, first 2 shown]
	ds_read_b128 v[2:5], v73 offset:256
	ds_read_b128 v[6:9], v73 offset:288
	;; [unrolled: 1-line block ×5, first 2 shown]
	s_waitcnt lgkmcnt(4)
	global_store_dwordx4 v[22:23], v[2:5], off offset:256
	s_waitcnt lgkmcnt(3)
	global_store_dwordx4 v[22:23], v[6:9], off offset:288
	;; [unrolled: 2-line block ×5, first 2 shown]
	s_and_b64 exec, exec, s[0:1]
	s_cbranch_execz .LBB0_26
; %bb.25:
	ds_read_b128 v[2:5], v73 offset:400
	s_waitcnt lgkmcnt(0)
	global_store_dwordx4 v[0:1], v[2:5], off offset:416
.LBB0_26:
	s_endpgm
	.section	.rodata,"a",@progbits
	.p2align	6, 0x0
	.amdhsa_kernel fft_rtc_fwd_len26_factors_13_2_wgs_64_tpt_2_halfLds_dp_ip_CI_unitstride_sbrr_R2C_dirReg
		.amdhsa_group_segment_fixed_size 0
		.amdhsa_private_segment_fixed_size 0
		.amdhsa_kernarg_size 88
		.amdhsa_user_sgpr_count 6
		.amdhsa_user_sgpr_private_segment_buffer 1
		.amdhsa_user_sgpr_dispatch_ptr 0
		.amdhsa_user_sgpr_queue_ptr 0
		.amdhsa_user_sgpr_kernarg_segment_ptr 1
		.amdhsa_user_sgpr_dispatch_id 0
		.amdhsa_user_sgpr_flat_scratch_init 0
		.amdhsa_user_sgpr_private_segment_size 0
		.amdhsa_uses_dynamic_stack 0
		.amdhsa_system_sgpr_private_segment_wavefront_offset 0
		.amdhsa_system_sgpr_workgroup_id_x 1
		.amdhsa_system_sgpr_workgroup_id_y 0
		.amdhsa_system_sgpr_workgroup_id_z 0
		.amdhsa_system_sgpr_workgroup_info 0
		.amdhsa_system_vgpr_workitem_id 0
		.amdhsa_next_free_vgpr 126
		.amdhsa_next_free_sgpr 36
		.amdhsa_reserve_vcc 1
		.amdhsa_reserve_flat_scratch 0
		.amdhsa_float_round_mode_32 0
		.amdhsa_float_round_mode_16_64 0
		.amdhsa_float_denorm_mode_32 3
		.amdhsa_float_denorm_mode_16_64 3
		.amdhsa_dx10_clamp 1
		.amdhsa_ieee_mode 1
		.amdhsa_fp16_overflow 0
		.amdhsa_exception_fp_ieee_invalid_op 0
		.amdhsa_exception_fp_denorm_src 0
		.amdhsa_exception_fp_ieee_div_zero 0
		.amdhsa_exception_fp_ieee_overflow 0
		.amdhsa_exception_fp_ieee_underflow 0
		.amdhsa_exception_fp_ieee_inexact 0
		.amdhsa_exception_int_div_zero 0
	.end_amdhsa_kernel
	.text
.Lfunc_end0:
	.size	fft_rtc_fwd_len26_factors_13_2_wgs_64_tpt_2_halfLds_dp_ip_CI_unitstride_sbrr_R2C_dirReg, .Lfunc_end0-fft_rtc_fwd_len26_factors_13_2_wgs_64_tpt_2_halfLds_dp_ip_CI_unitstride_sbrr_R2C_dirReg
                                        ; -- End function
	.section	.AMDGPU.csdata,"",@progbits
; Kernel info:
; codeLenInByte = 7972
; NumSgprs: 40
; NumVgprs: 126
; ScratchSize: 0
; MemoryBound: 0
; FloatMode: 240
; IeeeMode: 1
; LDSByteSize: 0 bytes/workgroup (compile time only)
; SGPRBlocks: 4
; VGPRBlocks: 31
; NumSGPRsForWavesPerEU: 40
; NumVGPRsForWavesPerEU: 126
; Occupancy: 2
; WaveLimiterHint : 1
; COMPUTE_PGM_RSRC2:SCRATCH_EN: 0
; COMPUTE_PGM_RSRC2:USER_SGPR: 6
; COMPUTE_PGM_RSRC2:TRAP_HANDLER: 0
; COMPUTE_PGM_RSRC2:TGID_X_EN: 1
; COMPUTE_PGM_RSRC2:TGID_Y_EN: 0
; COMPUTE_PGM_RSRC2:TGID_Z_EN: 0
; COMPUTE_PGM_RSRC2:TIDIG_COMP_CNT: 0
	.type	__hip_cuid_4ffbb2bcefbd3a0e,@object ; @__hip_cuid_4ffbb2bcefbd3a0e
	.section	.bss,"aw",@nobits
	.globl	__hip_cuid_4ffbb2bcefbd3a0e
__hip_cuid_4ffbb2bcefbd3a0e:
	.byte	0                               ; 0x0
	.size	__hip_cuid_4ffbb2bcefbd3a0e, 1

	.ident	"AMD clang version 19.0.0git (https://github.com/RadeonOpenCompute/llvm-project roc-6.4.0 25133 c7fe45cf4b819c5991fe208aaa96edf142730f1d)"
	.section	".note.GNU-stack","",@progbits
	.addrsig
	.addrsig_sym __hip_cuid_4ffbb2bcefbd3a0e
	.amdgpu_metadata
---
amdhsa.kernels:
  - .args:
      - .actual_access:  read_only
        .address_space:  global
        .offset:         0
        .size:           8
        .value_kind:     global_buffer
      - .offset:         8
        .size:           8
        .value_kind:     by_value
      - .actual_access:  read_only
        .address_space:  global
        .offset:         16
        .size:           8
        .value_kind:     global_buffer
      - .actual_access:  read_only
        .address_space:  global
        .offset:         24
        .size:           8
        .value_kind:     global_buffer
      - .offset:         32
        .size:           8
        .value_kind:     by_value
      - .actual_access:  read_only
        .address_space:  global
        .offset:         40
        .size:           8
        .value_kind:     global_buffer
      - .actual_access:  read_only
        .address_space:  global
        .offset:         48
        .size:           8
        .value_kind:     global_buffer
      - .offset:         56
        .size:           4
        .value_kind:     by_value
      - .actual_access:  read_only
        .address_space:  global
        .offset:         64
        .size:           8
        .value_kind:     global_buffer
      - .actual_access:  read_only
        .address_space:  global
        .offset:         72
        .size:           8
        .value_kind:     global_buffer
      - .address_space:  global
        .offset:         80
        .size:           8
        .value_kind:     global_buffer
    .group_segment_fixed_size: 0
    .kernarg_segment_align: 8
    .kernarg_segment_size: 88
    .language:       OpenCL C
    .language_version:
      - 2
      - 0
    .max_flat_workgroup_size: 64
    .name:           fft_rtc_fwd_len26_factors_13_2_wgs_64_tpt_2_halfLds_dp_ip_CI_unitstride_sbrr_R2C_dirReg
    .private_segment_fixed_size: 0
    .sgpr_count:     40
    .sgpr_spill_count: 0
    .symbol:         fft_rtc_fwd_len26_factors_13_2_wgs_64_tpt_2_halfLds_dp_ip_CI_unitstride_sbrr_R2C_dirReg.kd
    .uniform_work_group_size: 1
    .uses_dynamic_stack: false
    .vgpr_count:     126
    .vgpr_spill_count: 0
    .wavefront_size: 64
amdhsa.target:   amdgcn-amd-amdhsa--gfx906
amdhsa.version:
  - 1
  - 2
...

	.end_amdgpu_metadata
